;; amdgpu-corpus repo=zjin-lcf/HeCBench kind=compiled arch=gfx1100 opt=O3
	.text
	.amdgcn_target "amdgcn-amd-amdhsa--gfx1100"
	.amdhsa_code_object_version 6
	.protected	_Z9laplace3diiiiPKfPf   ; -- Begin function _Z9laplace3diiiiPKfPf
	.globl	_Z9laplace3diiiiPKfPf
	.p2align	8
	.type	_Z9laplace3diiiiPKfPf,@function
_Z9laplace3diiiiPKfPf:                  ; @_Z9laplace3diiiiPKfPf
; %bb.0:
	s_load_b128 s[8:11], s[0:1], 0x0
	v_and_b32_e32 v4, 0x3ff, v0
	v_bfe_u32 v3, v0, 10, 10
	s_mov_b32 s3, exec_lo
                                        ; implicit-def: $sgpr2
                                        ; implicit-def: $sgpr12
                                        ; implicit-def: $sgpr13
	s_delay_alu instid0(VALU_DEP_1) | instskip(NEXT) | instid1(VALU_DEP_1)
	v_lshl_add_u32 v5, v3, 5, v4
	v_cmpx_lt_u32_e32 0x53, v5
	s_xor_b32 s3, exec_lo, s3
; %bb.1:
	s_lshl_b32 s12, s14, 5
	s_lshl_b32 s13, s15, 3
	s_mov_b32 s2, -1
; %bb.2:
	s_or_saveexec_b32 s3, s3
	s_load_b128 s[4:7], s[0:1], 0x10
	v_dual_mov_b32 v2, s12 :: v_dual_mov_b32 v7, s13
                                        ; implicit-def: $vgpr0
                                        ; implicit-def: $vgpr1
	s_xor_b32 exec_lo, exec_lo, s3
	s_cbranch_execz .LBB0_10
; %bb.3:
	s_mov_b32 s0, exec_lo
                                        ; implicit-def: $vgpr6
                                        ; implicit-def: $vgpr0
	v_cmpx_lt_u32_e32 1, v3
	s_xor_b32 s0, exec_lo, s0
; %bb.4:
	v_and_b32_e32 v0, 1, v4
	v_lshrrev_b32_e32 v1, 1, v5
	s_delay_alu instid0(VALU_DEP_2) | instskip(NEXT) | instid1(VALU_DEP_2)
	v_cmp_eq_u32_e32 vcc_lo, 1, v0
	v_subrev_nc_u32_e32 v0, 33, v1
	v_cndmask_b32_e64 v6, -1, 32, vcc_lo
; %bb.5:
	s_and_not1_saveexec_b32 s0, s0
; %bb.6:
	v_mad_u32_u24 v0, v3, 9, -1
	v_mov_b32_e32 v6, v4
; %bb.7:
	s_or_b32 exec_lo, exec_lo, s0
	s_lshl_b32 s12, s14, 5
	s_lshl_b32 s13, s15, 3
	s_delay_alu instid0(VALU_DEP_1)
	v_add_nc_u32_e32 v2, s12, v6
	v_add_nc_u32_e32 v8, s13, v0
	v_mul_lo_u32 v7, v0, 34
	s_mov_b32 s0, -1
	s_mov_b32 s14, exec_lo
	s_waitcnt lgkmcnt(0)
	v_mad_u64_u32 v[0:1], null, v8, s11, v[2:3]
	v_cmpx_lt_i32_e32 -1, v2
; %bb.8:
	v_cmp_le_i32_e32 vcc_lo, s8, v2
	v_cmp_le_i32_e64 s0, s9, v8
	v_cmp_gt_i32_e64 s1, 0, v8
	s_delay_alu instid0(VALU_DEP_2)
	s_or_b32 s0, s0, vcc_lo
	s_delay_alu instid0(VALU_DEP_1) | instid1(SALU_CYCLE_1)
	s_or_b32 s0, s0, s1
	s_delay_alu instid0(SALU_CYCLE_1)
	s_or_not1_b32 s0, s0, exec_lo
; %bb.9:
	s_or_b32 exec_lo, exec_lo, s14
	v_add3_u32 v1, v7, v6, 0x177
	v_dual_mov_b32 v2, s12 :: v_dual_mov_b32 v7, s13
	s_and_not1_b32 s1, s2, exec_lo
	s_and_b32 s0, s0, exec_lo
	s_delay_alu instid0(SALU_CYCLE_1)
	s_or_b32 s2, s1, s0
.LBB0_10:
	s_or_b32 exec_lo, exec_lo, s3
	s_delay_alu instid0(VALU_DEP_1)
	v_add_nc_u32_e32 v6, v2, v4
	v_add_nc_u32_e32 v9, v7, v3
	v_lshl_add_u32 v4, v3, 1, v5
	s_xor_b32 s3, s2, -1
	s_waitcnt lgkmcnt(0)
	v_cmp_gt_i32_e32 vcc_lo, s8, v6
	v_mad_u64_u32 v[2:3], null, v9, s11, v[6:7]
	v_cmp_gt_i32_e64 s0, s9, v9
	v_lshlrev_b32_e32 v7, 2, v4
	s_delay_alu instid0(VALU_DEP_2) | instskip(NEXT) | instid1(SALU_CYCLE_1)
	s_and_b32 s12, vcc_lo, s0
	s_and_saveexec_b32 s0, s12
	s_cbranch_execnz .LBB0_13
; %bb.11:
	s_or_b32 exec_lo, exec_lo, s0
	v_lshlrev_b32_e32 v8, 2, v1
	s_and_saveexec_b32 s0, s3
	s_cbranch_execnz .LBB0_14
.LBB0_12:
	s_or_b32 exec_lo, exec_lo, s0
	s_cmp_lt_i32 s10, 1
	s_cbranch_scc0 .LBB0_15
	s_branch .LBB0_39
.LBB0_13:
	s_delay_alu instid0(VALU_DEP_3) | instskip(NEXT) | instid1(VALU_DEP_1)
	v_ashrrev_i32_e32 v3, 31, v2
	v_lshlrev_b64 v[3:4], 2, v[2:3]
	s_delay_alu instid0(VALU_DEP_1) | instskip(NEXT) | instid1(VALU_DEP_2)
	v_add_co_u32 v3, vcc_lo, s4, v3
	v_add_co_ci_u32_e32 v4, vcc_lo, s5, v4, vcc_lo
	global_load_b32 v3, v[3:4], off
	s_waitcnt vmcnt(0)
	ds_store_b32 v7, v3 offset:2860
	s_or_b32 exec_lo, exec_lo, s0
	v_lshlrev_b32_e32 v8, 2, v1
	s_and_saveexec_b32 s0, s3
	s_cbranch_execz .LBB0_12
.LBB0_14:
	v_ashrrev_i32_e32 v1, 31, v0
	s_delay_alu instid0(VALU_DEP_1) | instskip(NEXT) | instid1(VALU_DEP_1)
	v_lshlrev_b64 v[3:4], 2, v[0:1]
	v_add_co_u32 v3, vcc_lo, s4, v3
	s_delay_alu instid0(VALU_DEP_2)
	v_add_co_ci_u32_e32 v4, vcc_lo, s5, v4, vcc_lo
	global_load_b32 v1, v[3:4], off
	s_waitcnt vmcnt(0)
	ds_store_b32 v8, v1 offset:1360
	s_or_b32 exec_lo, exec_lo, s0
	s_cmp_lt_i32 s10, 1
	s_cbranch_scc1 .LBB0_39
.LBB0_15:
	v_mov_b32_e32 v4, v2
	s_mul_i32 s11, s11, s9
	s_and_saveexec_b32 s0, s12
	s_cbranch_execz .LBB0_18
; %bb.16:
	ds_load_b32 v1, v7 offset:1500
	ds_load_b32 v3, v7 offset:2860
	v_add_nc_u32_e32 v4, s11, v2
	s_cmp_eq_u32 s10, 1
	s_waitcnt lgkmcnt(1)
	ds_store_b32 v7, v1 offset:140
	s_waitcnt lgkmcnt(1)
	ds_store_b32 v7, v3 offset:1500
	s_cbranch_scc1 .LBB0_18
; %bb.17:
	v_ashrrev_i32_e32 v5, 31, v4
	s_delay_alu instid0(VALU_DEP_1) | instskip(NEXT) | instid1(VALU_DEP_1)
	v_lshlrev_b64 v[10:11], 2, v[4:5]
	v_add_co_u32 v10, vcc_lo, s4, v10
	s_delay_alu instid0(VALU_DEP_2)
	v_add_co_ci_u32_e32 v11, vcc_lo, s5, v11, vcc_lo
	global_load_b32 v1, v[10:11], off
	s_waitcnt vmcnt(0)
	ds_store_b32 v7, v1 offset:2860
.LBB0_18:
	s_or_b32 exec_lo, exec_lo, s0
	v_add_nc_u32_e32 v5, 0xfffffab0, v8
	s_and_saveexec_b32 s0, s3
	s_cbranch_execz .LBB0_21
; %bb.19:
	ds_load_b32 v1, v8
	ds_load_b32 v3, v8 offset:1360
	v_add_nc_u32_e32 v0, s11, v0
	s_cmp_eq_u32 s10, 1
	s_waitcnt lgkmcnt(1)
	ds_store_b32 v5, v1
	s_waitcnt lgkmcnt(1)
	ds_store_b32 v8, v3
	s_cbranch_scc1 .LBB0_21
; %bb.20:
	v_ashrrev_i32_e32 v1, 31, v0
	s_delay_alu instid0(VALU_DEP_1) | instskip(NEXT) | instid1(VALU_DEP_1)
	v_lshlrev_b64 v[10:11], 2, v[0:1]
	v_add_co_u32 v10, vcc_lo, s4, v10
	s_delay_alu instid0(VALU_DEP_2)
	v_add_co_ci_u32_e32 v11, vcc_lo, s5, v11, vcc_lo
	global_load_b32 v1, v[10:11], off
	s_waitcnt vmcnt(0)
	ds_store_b32 v8, v1 offset:1360
.LBB0_21:
	s_or_b32 exec_lo, exec_lo, s0
	s_waitcnt lgkmcnt(0)
	s_barrier
	buffer_gl0_inv
	s_and_saveexec_b32 s0, s12
	s_cbranch_execz .LBB0_23
; %bb.22:
	ds_load_b32 v1, v7 offset:1500
	v_ashrrev_i32_e32 v3, 31, v2
	s_delay_alu instid0(VALU_DEP_1) | instskip(NEXT) | instid1(VALU_DEP_1)
	v_lshlrev_b64 v[10:11], 2, v[2:3]
	v_add_co_u32 v10, vcc_lo, s6, v10
	s_delay_alu instid0(VALU_DEP_2)
	v_add_co_ci_u32_e32 v11, vcc_lo, s7, v11, vcc_lo
	s_waitcnt lgkmcnt(0)
	global_store_b32 v[10:11], v1, off
.LBB0_23:
	s_or_b32 exec_lo, exec_lo, s0
	s_cmp_eq_u32 s10, 1
	s_waitcnt_vscnt null, 0x0
	s_barrier
	buffer_gl0_inv
	s_cbranch_scc1 .LBB0_39
; %bb.24:
	s_add_i32 s0, s8, -1
	v_cmp_eq_u32_e32 vcc_lo, 0, v6
	v_cmp_eq_u32_e64 s0, s0, v6
	s_add_i32 s2, s9, -1
	v_cmp_eq_u32_e64 s1, 0, v9
	v_cmp_eq_u32_e64 s2, s2, v9
	v_add_nc_u32_e32 v6, 0x400, v7
	s_or_b32 s8, vcc_lo, s0
	s_mov_b32 s9, 0
	s_or_b32 s1, s8, s1
	s_add_i32 s0, s10, -1
	s_or_b32 s2, s1, s2
	s_add_i32 s1, s10, -2
	s_xor_b32 s2, s2, -1
	s_branch .LBB0_27
.LBB0_25:                               ;   in Loop: Header=BB0_27 Depth=1
	s_or_b32 exec_lo, exec_lo, s9
	v_ashrrev_i32_e32 v3, 31, v2
	s_delay_alu instid0(VALU_DEP_1) | instskip(NEXT) | instid1(VALU_DEP_1)
	v_lshlrev_b64 v[9:10], 2, v[2:3]
	v_add_co_u32 v9, vcc_lo, s6, v9
	s_delay_alu instid0(VALU_DEP_2)
	v_add_co_ci_u32_e32 v10, vcc_lo, s7, v10, vcc_lo
	s_waitcnt lgkmcnt(0)
	global_store_b32 v[9:10], v1, off
.LBB0_26:                               ;   in Loop: Header=BB0_27 Depth=1
	s_or_b32 exec_lo, exec_lo, s10
	s_cmp_lg_u32 s0, s8
	s_mov_b32 s9, s8
	s_waitcnt_vscnt null, 0x0
	s_barrier
	buffer_gl0_inv
	s_cbranch_scc0 .LBB0_39
.LBB0_27:                               ; =>This Inner Loop Header: Depth=1
	s_add_i32 s8, s9, 1
	s_and_saveexec_b32 s10, s12
	s_cbranch_execz .LBB0_31
; %bb.28:                               ;   in Loop: Header=BB0_27 Depth=1
	ds_load_b32 v2, v7 offset:1500
	ds_load_b32 v3, v7 offset:2860
	v_add_nc_u32_e32 v1, s11, v4
	s_cmp_ge_i32 s8, s0
	s_waitcnt lgkmcnt(1)
	ds_store_b32 v7, v2 offset:140
	s_waitcnt lgkmcnt(1)
	ds_store_b32 v7, v3 offset:1500
	s_cbranch_scc1 .LBB0_30
; %bb.29:                               ;   in Loop: Header=BB0_27 Depth=1
	v_ashrrev_i32_e32 v2, 31, v1
	s_delay_alu instid0(VALU_DEP_1) | instskip(NEXT) | instid1(VALU_DEP_1)
	v_lshlrev_b64 v[2:3], 2, v[1:2]
	v_add_co_u32 v2, vcc_lo, s4, v2
	s_delay_alu instid0(VALU_DEP_2)
	v_add_co_ci_u32_e32 v3, vcc_lo, s5, v3, vcc_lo
	global_load_b32 v2, v[2:3], off
	s_waitcnt vmcnt(0)
	ds_store_b32 v7, v2 offset:2860
.LBB0_30:                               ;   in Loop: Header=BB0_27 Depth=1
	v_mov_b32_e32 v2, v4
	v_mov_b32_e32 v4, v1
.LBB0_31:                               ;   in Loop: Header=BB0_27 Depth=1
	s_or_b32 exec_lo, exec_lo, s10
	s_and_saveexec_b32 s10, s3
	s_cbranch_execz .LBB0_34
; %bb.32:                               ;   in Loop: Header=BB0_27 Depth=1
	ds_load_b32 v1, v8
	ds_load_b32 v3, v8 offset:1360
	v_add_nc_u32_e32 v0, s11, v0
	s_cmp_ge_i32 s8, s0
	s_waitcnt lgkmcnt(1)
	ds_store_b32 v5, v1
	s_waitcnt lgkmcnt(1)
	ds_store_b32 v8, v3
	s_cbranch_scc1 .LBB0_34
; %bb.33:                               ;   in Loop: Header=BB0_27 Depth=1
	v_ashrrev_i32_e32 v1, 31, v0
	s_delay_alu instid0(VALU_DEP_1) | instskip(NEXT) | instid1(VALU_DEP_1)
	v_lshlrev_b64 v[9:10], 2, v[0:1]
	v_add_co_u32 v9, vcc_lo, s4, v9
	s_delay_alu instid0(VALU_DEP_2)
	v_add_co_ci_u32_e32 v10, vcc_lo, s5, v10, vcc_lo
	global_load_b32 v1, v[9:10], off
	s_waitcnt vmcnt(0)
	ds_store_b32 v8, v1 offset:1360
.LBB0_34:                               ;   in Loop: Header=BB0_27 Depth=1
	s_or_b32 exec_lo, exec_lo, s10
	s_waitcnt lgkmcnt(0)
	s_barrier
	buffer_gl0_inv
	s_and_saveexec_b32 s10, s12
	s_cbranch_execz .LBB0_26
; %bb.35:                               ;   in Loop: Header=BB0_27 Depth=1
	s_cmp_lg_u32 s1, s9
                                        ; implicit-def: $vgpr1
	s_cselect_b32 s9, -1, 0
	s_delay_alu instid0(SALU_CYCLE_1) | instskip(NEXT) | instid1(SALU_CYCLE_1)
	s_and_b32 s9, s2, s9
	s_and_saveexec_b32 s13, s9
	s_delay_alu instid0(SALU_CYCLE_1)
	s_xor_b32 s9, exec_lo, s13
	s_cbranch_execz .LBB0_37
; %bb.36:                               ;   in Loop: Header=BB0_27 Depth=1
	ds_load_2addr_b32 v[9:10], v6 offset0:85 offset1:118
	ds_load_2addr_b32 v[11:12], v6 offset0:120 offset1:153
	ds_load_b32 v1, v7 offset:140
	s_waitcnt lgkmcnt(1)
	v_add_f32_e32 v3, v10, v11
	ds_load_b32 v10, v7 offset:2860
	v_add_f32_e32 v3, v3, v9
	s_delay_alu instid0(VALU_DEP_1) | instskip(SKIP_1) | instid1(VALU_DEP_1)
	v_add_f32_e32 v3, v3, v12
	s_waitcnt lgkmcnt(1)
	v_add_f32_e32 v1, v3, v1
	s_waitcnt lgkmcnt(0)
	s_delay_alu instid0(VALU_DEP_1) | instskip(NEXT) | instid1(VALU_DEP_1)
	v_add_f32_e32 v1, v1, v10
	v_mul_f32_e32 v1, 0x3e2aaaab, v1
.LBB0_37:                               ;   in Loop: Header=BB0_27 Depth=1
	s_and_not1_saveexec_b32 s9, s9
	s_cbranch_execz .LBB0_25
; %bb.38:                               ;   in Loop: Header=BB0_27 Depth=1
	ds_load_b32 v1, v7 offset:1500
	s_branch .LBB0_25
.LBB0_39:
	s_endpgm
	.section	.rodata,"a",@progbits
	.p2align	6, 0x0
	.amdhsa_kernel _Z9laplace3diiiiPKfPf
		.amdhsa_group_segment_fixed_size 4080
		.amdhsa_private_segment_fixed_size 0
		.amdhsa_kernarg_size 32
		.amdhsa_user_sgpr_count 14
		.amdhsa_user_sgpr_dispatch_ptr 0
		.amdhsa_user_sgpr_queue_ptr 0
		.amdhsa_user_sgpr_kernarg_segment_ptr 1
		.amdhsa_user_sgpr_dispatch_id 0
		.amdhsa_user_sgpr_private_segment_size 0
		.amdhsa_wavefront_size32 1
		.amdhsa_uses_dynamic_stack 0
		.amdhsa_enable_private_segment 0
		.amdhsa_system_sgpr_workgroup_id_x 1
		.amdhsa_system_sgpr_workgroup_id_y 1
		.amdhsa_system_sgpr_workgroup_id_z 0
		.amdhsa_system_sgpr_workgroup_info 0
		.amdhsa_system_vgpr_workitem_id 1
		.amdhsa_next_free_vgpr 13
		.amdhsa_next_free_sgpr 16
		.amdhsa_reserve_vcc 1
		.amdhsa_float_round_mode_32 0
		.amdhsa_float_round_mode_16_64 0
		.amdhsa_float_denorm_mode_32 3
		.amdhsa_float_denorm_mode_16_64 3
		.amdhsa_dx10_clamp 1
		.amdhsa_ieee_mode 1
		.amdhsa_fp16_overflow 0
		.amdhsa_workgroup_processor_mode 1
		.amdhsa_memory_ordered 1
		.amdhsa_forward_progress 0
		.amdhsa_shared_vgpr_count 0
		.amdhsa_exception_fp_ieee_invalid_op 0
		.amdhsa_exception_fp_denorm_src 0
		.amdhsa_exception_fp_ieee_div_zero 0
		.amdhsa_exception_fp_ieee_overflow 0
		.amdhsa_exception_fp_ieee_underflow 0
		.amdhsa_exception_fp_ieee_inexact 0
		.amdhsa_exception_int_div_zero 0
	.end_amdhsa_kernel
	.text
.Lfunc_end0:
	.size	_Z9laplace3diiiiPKfPf, .Lfunc_end0-_Z9laplace3diiiiPKfPf
                                        ; -- End function
	.section	.AMDGPU.csdata,"",@progbits
; Kernel info:
; codeLenInByte = 1436
; NumSgprs: 18
; NumVgprs: 13
; ScratchSize: 0
; MemoryBound: 0
; FloatMode: 240
; IeeeMode: 1
; LDSByteSize: 4080 bytes/workgroup (compile time only)
; SGPRBlocks: 2
; VGPRBlocks: 1
; NumSGPRsForWavesPerEU: 18
; NumVGPRsForWavesPerEU: 13
; Occupancy: 16
; WaveLimiterHint : 0
; COMPUTE_PGM_RSRC2:SCRATCH_EN: 0
; COMPUTE_PGM_RSRC2:USER_SGPR: 14
; COMPUTE_PGM_RSRC2:TRAP_HANDLER: 0
; COMPUTE_PGM_RSRC2:TGID_X_EN: 1
; COMPUTE_PGM_RSRC2:TGID_Y_EN: 1
; COMPUTE_PGM_RSRC2:TGID_Z_EN: 0
; COMPUTE_PGM_RSRC2:TIDIG_COMP_CNT: 1
	.text
	.p2alignl 7, 3214868480
	.fill 96, 4, 3214868480
	.type	__hip_cuid_d3b7885507d794cd,@object ; @__hip_cuid_d3b7885507d794cd
	.section	.bss,"aw",@nobits
	.globl	__hip_cuid_d3b7885507d794cd
__hip_cuid_d3b7885507d794cd:
	.byte	0                               ; 0x0
	.size	__hip_cuid_d3b7885507d794cd, 1

	.ident	"AMD clang version 19.0.0git (https://github.com/RadeonOpenCompute/llvm-project roc-6.4.0 25133 c7fe45cf4b819c5991fe208aaa96edf142730f1d)"
	.section	".note.GNU-stack","",@progbits
	.addrsig
	.addrsig_sym __hip_cuid_d3b7885507d794cd
	.amdgpu_metadata
---
amdhsa.kernels:
  - .args:
      - .offset:         0
        .size:           4
        .value_kind:     by_value
      - .offset:         4
        .size:           4
        .value_kind:     by_value
      - .offset:         8
        .size:           4
        .value_kind:     by_value
      - .offset:         12
        .size:           4
        .value_kind:     by_value
      - .actual_access:  read_only
        .address_space:  global
        .offset:         16
        .size:           8
        .value_kind:     global_buffer
      - .actual_access:  write_only
        .address_space:  global
        .offset:         24
        .size:           8
        .value_kind:     global_buffer
    .group_segment_fixed_size: 4080
    .kernarg_segment_align: 8
    .kernarg_segment_size: 32
    .language:       OpenCL C
    .language_version:
      - 2
      - 0
    .max_flat_workgroup_size: 1024
    .name:           _Z9laplace3diiiiPKfPf
    .private_segment_fixed_size: 0
    .sgpr_count:     18
    .sgpr_spill_count: 0
    .symbol:         _Z9laplace3diiiiPKfPf.kd
    .uniform_work_group_size: 1
    .uses_dynamic_stack: false
    .vgpr_count:     13
    .vgpr_spill_count: 0
    .wavefront_size: 32
    .workgroup_processor_mode: 1
amdhsa.target:   amdgcn-amd-amdhsa--gfx1100
amdhsa.version:
  - 1
  - 2
...

	.end_amdgpu_metadata
